;; amdgpu-corpus repo=ROCm/rocFFT kind=compiled arch=gfx1201 opt=O3
	.text
	.amdgcn_target "amdgcn-amd-amdhsa--gfx1201"
	.amdhsa_code_object_version 6
	.protected	fft_rtc_fwd_len432_factors_3_16_3_3_wgs_54_tpt_27_halfLds_half_op_CI_CI_unitstride_sbrr_C2R_dirReg ; -- Begin function fft_rtc_fwd_len432_factors_3_16_3_3_wgs_54_tpt_27_halfLds_half_op_CI_CI_unitstride_sbrr_C2R_dirReg
	.globl	fft_rtc_fwd_len432_factors_3_16_3_3_wgs_54_tpt_27_halfLds_half_op_CI_CI_unitstride_sbrr_C2R_dirReg
	.p2align	8
	.type	fft_rtc_fwd_len432_factors_3_16_3_3_wgs_54_tpt_27_halfLds_half_op_CI_CI_unitstride_sbrr_C2R_dirReg,@function
fft_rtc_fwd_len432_factors_3_16_3_3_wgs_54_tpt_27_halfLds_half_op_CI_CI_unitstride_sbrr_C2R_dirReg: ; @fft_rtc_fwd_len432_factors_3_16_3_3_wgs_54_tpt_27_halfLds_half_op_CI_CI_unitstride_sbrr_C2R_dirReg
; %bb.0:
	s_clause 0x2
	s_load_b128 s[8:11], s[0:1], 0x0
	s_load_b128 s[4:7], s[0:1], 0x58
	;; [unrolled: 1-line block ×3, first 2 shown]
	v_mul_u32_u24_e32 v1, 0x97c, v0
	v_mov_b32_e32 v3, 0
	v_mov_b32_e32 v7, 0
	;; [unrolled: 1-line block ×3, first 2 shown]
	s_delay_alu instid0(VALU_DEP_4) | instskip(NEXT) | instid1(VALU_DEP_4)
	v_lshrrev_b32_e32 v11, 16, v1
	v_mov_b32_e32 v10, v3
	s_delay_alu instid0(VALU_DEP_2) | instskip(SKIP_2) | instid1(VALU_DEP_1)
	v_lshl_add_u32 v9, ttmp9, 1, v11
	s_wait_kmcnt 0x0
	v_cmp_lt_u64_e64 s2, s[10:11], 2
	s_and_b32 vcc_lo, exec_lo, s2
	s_cbranch_vccnz .LBB0_8
; %bb.1:
	s_load_b64 s[2:3], s[0:1], 0x10
	v_mov_b32_e32 v7, 0
	v_mov_b32_e32 v8, 0
	s_delay_alu instid0(VALU_DEP_2)
	v_mov_b32_e32 v1, v7
	s_add_nc_u64 s[16:17], s[14:15], 8
	s_add_nc_u64 s[18:19], s[12:13], 8
	s_mov_b64 s[20:21], 1
	v_mov_b32_e32 v2, v8
	s_wait_kmcnt 0x0
	s_add_nc_u64 s[22:23], s[2:3], 8
	s_mov_b32 s3, 0
.LBB0_2:                                ; =>This Inner Loop Header: Depth=1
	s_load_b64 s[24:25], s[22:23], 0x0
                                        ; implicit-def: $vgpr5_vgpr6
	s_mov_b32 s2, exec_lo
	s_wait_kmcnt 0x0
	v_or_b32_e32 v4, s25, v10
	s_delay_alu instid0(VALU_DEP_1)
	v_cmpx_ne_u64_e32 0, v[3:4]
	s_wait_alu 0xfffe
	s_xor_b32 s26, exec_lo, s2
	s_cbranch_execz .LBB0_4
; %bb.3:                                ;   in Loop: Header=BB0_2 Depth=1
	s_cvt_f32_u32 s2, s24
	s_cvt_f32_u32 s27, s25
	s_sub_nc_u64 s[30:31], 0, s[24:25]
	s_wait_alu 0xfffe
	s_delay_alu instid0(SALU_CYCLE_1) | instskip(SKIP_1) | instid1(SALU_CYCLE_2)
	s_fmamk_f32 s2, s27, 0x4f800000, s2
	s_wait_alu 0xfffe
	v_s_rcp_f32 s2, s2
	s_delay_alu instid0(TRANS32_DEP_1) | instskip(SKIP_1) | instid1(SALU_CYCLE_2)
	s_mul_f32 s2, s2, 0x5f7ffffc
	s_wait_alu 0xfffe
	s_mul_f32 s27, s2, 0x2f800000
	s_wait_alu 0xfffe
	s_delay_alu instid0(SALU_CYCLE_2) | instskip(SKIP_1) | instid1(SALU_CYCLE_2)
	s_trunc_f32 s27, s27
	s_wait_alu 0xfffe
	s_fmamk_f32 s2, s27, 0xcf800000, s2
	s_cvt_u32_f32 s29, s27
	s_wait_alu 0xfffe
	s_delay_alu instid0(SALU_CYCLE_1) | instskip(SKIP_1) | instid1(SALU_CYCLE_2)
	s_cvt_u32_f32 s28, s2
	s_wait_alu 0xfffe
	s_mul_u64 s[34:35], s[30:31], s[28:29]
	s_wait_alu 0xfffe
	s_mul_hi_u32 s37, s28, s35
	s_mul_i32 s36, s28, s35
	s_mul_hi_u32 s2, s28, s34
	s_mul_i32 s33, s29, s34
	s_wait_alu 0xfffe
	s_add_nc_u64 s[36:37], s[2:3], s[36:37]
	s_mul_hi_u32 s27, s29, s34
	s_mul_hi_u32 s38, s29, s35
	s_add_co_u32 s2, s36, s33
	s_wait_alu 0xfffe
	s_add_co_ci_u32 s2, s37, s27
	s_mul_i32 s34, s29, s35
	s_add_co_ci_u32 s35, s38, 0
	s_wait_alu 0xfffe
	s_add_nc_u64 s[34:35], s[2:3], s[34:35]
	s_wait_alu 0xfffe
	v_add_co_u32 v4, s2, s28, s34
	s_delay_alu instid0(VALU_DEP_1) | instskip(SKIP_1) | instid1(VALU_DEP_1)
	s_cmp_lg_u32 s2, 0
	s_add_co_ci_u32 s29, s29, s35
	v_readfirstlane_b32 s28, v4
	s_wait_alu 0xfffe
	s_delay_alu instid0(VALU_DEP_1)
	s_mul_u64 s[30:31], s[30:31], s[28:29]
	s_wait_alu 0xfffe
	s_mul_hi_u32 s35, s28, s31
	s_mul_i32 s34, s28, s31
	s_mul_hi_u32 s2, s28, s30
	s_mul_i32 s33, s29, s30
	s_wait_alu 0xfffe
	s_add_nc_u64 s[34:35], s[2:3], s[34:35]
	s_mul_hi_u32 s27, s29, s30
	s_mul_hi_u32 s28, s29, s31
	s_wait_alu 0xfffe
	s_add_co_u32 s2, s34, s33
	s_add_co_ci_u32 s2, s35, s27
	s_mul_i32 s30, s29, s31
	s_add_co_ci_u32 s31, s28, 0
	s_wait_alu 0xfffe
	s_add_nc_u64 s[30:31], s[2:3], s[30:31]
	s_wait_alu 0xfffe
	v_add_co_u32 v6, s2, v4, s30
	s_delay_alu instid0(VALU_DEP_1) | instskip(SKIP_1) | instid1(VALU_DEP_1)
	s_cmp_lg_u32 s2, 0
	s_add_co_ci_u32 s2, s29, s31
	v_mul_hi_u32 v16, v9, v6
	s_wait_alu 0xfffe
	v_mad_co_u64_u32 v[4:5], null, v9, s2, 0
	v_mad_co_u64_u32 v[12:13], null, v10, v6, 0
	;; [unrolled: 1-line block ×3, first 2 shown]
	s_delay_alu instid0(VALU_DEP_3) | instskip(SKIP_1) | instid1(VALU_DEP_4)
	v_add_co_u32 v4, vcc_lo, v16, v4
	s_wait_alu 0xfffd
	v_add_co_ci_u32_e32 v5, vcc_lo, 0, v5, vcc_lo
	s_delay_alu instid0(VALU_DEP_2) | instskip(SKIP_1) | instid1(VALU_DEP_2)
	v_add_co_u32 v4, vcc_lo, v4, v12
	s_wait_alu 0xfffd
	v_add_co_ci_u32_e32 v4, vcc_lo, v5, v13, vcc_lo
	s_wait_alu 0xfffd
	v_add_co_ci_u32_e32 v5, vcc_lo, 0, v15, vcc_lo
	s_delay_alu instid0(VALU_DEP_2) | instskip(SKIP_1) | instid1(VALU_DEP_2)
	v_add_co_u32 v12, vcc_lo, v4, v14
	s_wait_alu 0xfffd
	v_add_co_ci_u32_e32 v6, vcc_lo, 0, v5, vcc_lo
	s_delay_alu instid0(VALU_DEP_2) | instskip(SKIP_1) | instid1(VALU_DEP_3)
	v_mul_lo_u32 v13, s25, v12
	v_mad_co_u64_u32 v[4:5], null, s24, v12, 0
	v_mul_lo_u32 v14, s24, v6
	s_delay_alu instid0(VALU_DEP_2) | instskip(NEXT) | instid1(VALU_DEP_2)
	v_sub_co_u32 v4, vcc_lo, v9, v4
	v_add3_u32 v5, v5, v14, v13
	s_delay_alu instid0(VALU_DEP_1) | instskip(SKIP_1) | instid1(VALU_DEP_1)
	v_sub_nc_u32_e32 v13, v10, v5
	s_wait_alu 0xfffd
	v_subrev_co_ci_u32_e64 v13, s2, s25, v13, vcc_lo
	v_add_co_u32 v14, s2, v12, 2
	s_wait_alu 0xf1ff
	v_add_co_ci_u32_e64 v15, s2, 0, v6, s2
	v_sub_co_u32 v16, s2, v4, s24
	v_sub_co_ci_u32_e32 v5, vcc_lo, v10, v5, vcc_lo
	s_wait_alu 0xf1ff
	v_subrev_co_ci_u32_e64 v13, s2, 0, v13, s2
	s_delay_alu instid0(VALU_DEP_3) | instskip(NEXT) | instid1(VALU_DEP_3)
	v_cmp_le_u32_e32 vcc_lo, s24, v16
	v_cmp_eq_u32_e64 s2, s25, v5
	s_wait_alu 0xfffd
	v_cndmask_b32_e64 v16, 0, -1, vcc_lo
	v_cmp_le_u32_e32 vcc_lo, s25, v13
	s_wait_alu 0xfffd
	v_cndmask_b32_e64 v17, 0, -1, vcc_lo
	v_cmp_le_u32_e32 vcc_lo, s24, v4
	;; [unrolled: 3-line block ×3, first 2 shown]
	s_wait_alu 0xfffd
	v_cndmask_b32_e64 v18, 0, -1, vcc_lo
	v_cmp_eq_u32_e32 vcc_lo, s25, v13
	s_wait_alu 0xf1ff
	s_delay_alu instid0(VALU_DEP_2)
	v_cndmask_b32_e64 v4, v18, v4, s2
	s_wait_alu 0xfffd
	v_cndmask_b32_e32 v13, v17, v16, vcc_lo
	v_add_co_u32 v16, vcc_lo, v12, 1
	s_wait_alu 0xfffd
	v_add_co_ci_u32_e32 v17, vcc_lo, 0, v6, vcc_lo
	s_delay_alu instid0(VALU_DEP_3) | instskip(SKIP_1) | instid1(VALU_DEP_2)
	v_cmp_ne_u32_e32 vcc_lo, 0, v13
	s_wait_alu 0xfffd
	v_cndmask_b32_e32 v5, v17, v15, vcc_lo
	v_cndmask_b32_e32 v13, v16, v14, vcc_lo
	v_cmp_ne_u32_e32 vcc_lo, 0, v4
	s_wait_alu 0xfffd
	s_delay_alu instid0(VALU_DEP_3) | instskip(NEXT) | instid1(VALU_DEP_3)
	v_cndmask_b32_e32 v6, v6, v5, vcc_lo
	v_cndmask_b32_e32 v5, v12, v13, vcc_lo
.LBB0_4:                                ;   in Loop: Header=BB0_2 Depth=1
	s_wait_alu 0xfffe
	s_and_not1_saveexec_b32 s2, s26
	s_cbranch_execz .LBB0_6
; %bb.5:                                ;   in Loop: Header=BB0_2 Depth=1
	v_cvt_f32_u32_e32 v4, s24
	s_sub_co_i32 s26, 0, s24
	s_delay_alu instid0(VALU_DEP_1) | instskip(NEXT) | instid1(TRANS32_DEP_1)
	v_rcp_iflag_f32_e32 v4, v4
	v_mul_f32_e32 v4, 0x4f7ffffe, v4
	s_delay_alu instid0(VALU_DEP_1) | instskip(SKIP_1) | instid1(VALU_DEP_1)
	v_cvt_u32_f32_e32 v4, v4
	s_wait_alu 0xfffe
	v_mul_lo_u32 v5, s26, v4
	s_delay_alu instid0(VALU_DEP_1) | instskip(NEXT) | instid1(VALU_DEP_1)
	v_mul_hi_u32 v5, v4, v5
	v_add_nc_u32_e32 v4, v4, v5
	s_delay_alu instid0(VALU_DEP_1) | instskip(NEXT) | instid1(VALU_DEP_1)
	v_mul_hi_u32 v4, v9, v4
	v_mul_lo_u32 v5, v4, s24
	v_add_nc_u32_e32 v6, 1, v4
	s_delay_alu instid0(VALU_DEP_2) | instskip(NEXT) | instid1(VALU_DEP_1)
	v_sub_nc_u32_e32 v5, v9, v5
	v_subrev_nc_u32_e32 v12, s24, v5
	v_cmp_le_u32_e32 vcc_lo, s24, v5
	s_wait_alu 0xfffd
	s_delay_alu instid0(VALU_DEP_2) | instskip(NEXT) | instid1(VALU_DEP_1)
	v_dual_cndmask_b32 v5, v5, v12 :: v_dual_cndmask_b32 v4, v4, v6
	v_cmp_le_u32_e32 vcc_lo, s24, v5
	s_delay_alu instid0(VALU_DEP_2) | instskip(SKIP_1) | instid1(VALU_DEP_1)
	v_add_nc_u32_e32 v6, 1, v4
	s_wait_alu 0xfffd
	v_dual_cndmask_b32 v5, v4, v6 :: v_dual_mov_b32 v6, v3
.LBB0_6:                                ;   in Loop: Header=BB0_2 Depth=1
	s_wait_alu 0xfffe
	s_or_b32 exec_lo, exec_lo, s2
	s_delay_alu instid0(VALU_DEP_1) | instskip(NEXT) | instid1(VALU_DEP_2)
	v_mul_lo_u32 v4, v6, s24
	v_mul_lo_u32 v14, v5, s25
	s_load_b64 s[26:27], s[18:19], 0x0
	v_mad_co_u64_u32 v[12:13], null, v5, s24, 0
	s_load_b64 s[24:25], s[16:17], 0x0
	s_add_nc_u64 s[20:21], s[20:21], 1
	s_add_nc_u64 s[16:17], s[16:17], 8
	s_wait_alu 0xfffe
	v_cmp_ge_u64_e64 s2, s[20:21], s[10:11]
	s_add_nc_u64 s[18:19], s[18:19], 8
	s_add_nc_u64 s[22:23], s[22:23], 8
	v_add3_u32 v4, v13, v14, v4
	v_sub_co_u32 v9, vcc_lo, v9, v12
	s_wait_alu 0xfffd
	s_delay_alu instid0(VALU_DEP_2) | instskip(SKIP_2) | instid1(VALU_DEP_1)
	v_sub_co_ci_u32_e32 v4, vcc_lo, v10, v4, vcc_lo
	s_and_b32 vcc_lo, exec_lo, s2
	s_wait_kmcnt 0x0
	v_mul_lo_u32 v10, s26, v4
	v_mul_lo_u32 v12, s27, v9
	v_mad_co_u64_u32 v[7:8], null, s26, v9, v[7:8]
	v_mul_lo_u32 v4, s24, v4
	v_mul_lo_u32 v13, s25, v9
	v_mad_co_u64_u32 v[1:2], null, s24, v9, v[1:2]
	s_delay_alu instid0(VALU_DEP_4) | instskip(NEXT) | instid1(VALU_DEP_2)
	v_add3_u32 v8, v12, v8, v10
	v_add3_u32 v2, v13, v2, v4
	s_wait_alu 0xfffe
	s_cbranch_vccnz .LBB0_9
; %bb.7:                                ;   in Loop: Header=BB0_2 Depth=1
	v_dual_mov_b32 v10, v6 :: v_dual_mov_b32 v9, v5
	s_branch .LBB0_2
.LBB0_8:
	v_dual_mov_b32 v1, v7 :: v_dual_mov_b32 v2, v8
	v_dual_mov_b32 v5, v9 :: v_dual_mov_b32 v6, v10
.LBB0_9:
	s_load_b64 s[0:1], s[0:1], 0x28
	v_and_b32_e32 v3, 1, v11
	v_mul_hi_u32 v4, 0x97b425f, v0
	s_lshl_b64 s[10:11], s[10:11], 3
	s_wait_alu 0xfffe
	s_add_nc_u64 s[2:3], s[14:15], s[10:11]
	s_wait_kmcnt 0x0
	v_cmp_gt_u64_e32 vcc_lo, s[0:1], v[5:6]
	v_cmp_le_u64_e64 s1, s[0:1], v[5:6]
	v_cmp_eq_u32_e64 s0, 1, v3
                                        ; implicit-def: $vgpr3
	s_delay_alu instid0(VALU_DEP_2) | instskip(NEXT) | instid1(SALU_CYCLE_1)
	s_and_saveexec_b32 s14, s1
	s_xor_b32 s1, exec_lo, s14
; %bb.10:
	v_mul_u32_u24_e32 v3, 27, v4
                                        ; implicit-def: $vgpr4
                                        ; implicit-def: $vgpr7_vgpr8
	s_delay_alu instid0(VALU_DEP_1)
	v_sub_nc_u32_e32 v3, v0, v3
                                        ; implicit-def: $vgpr0
; %bb.11:
	s_wait_alu 0xfffe
	s_or_saveexec_b32 s1, s1
	s_load_b64 s[2:3], s[2:3], 0x0
	v_cndmask_b32_e64 v26, 0, 0x1b1, s0
	s_delay_alu instid0(VALU_DEP_1)
	v_lshlrev_b32_e32 v27, 2, v26
	s_xor_b32 exec_lo, exec_lo, s1
	s_cbranch_execz .LBB0_15
; %bb.12:
	s_add_nc_u64 s[10:11], s[12:13], s[10:11]
	v_lshlrev_b64_e32 v[7:8], 2, v[7:8]
	s_load_b64 s[10:11], s[10:11], 0x0
	s_wait_kmcnt 0x0
	v_mul_lo_u32 v3, s11, v5
	v_mul_lo_u32 v11, s10, v6
	v_mad_co_u64_u32 v[9:10], null, s10, v5, 0
	s_delay_alu instid0(VALU_DEP_1) | instskip(SKIP_1) | instid1(VALU_DEP_2)
	v_add3_u32 v10, v10, v11, v3
	v_mul_u32_u24_e32 v3, 27, v4
	v_lshlrev_b64_e32 v[9:10], 2, v[9:10]
	s_delay_alu instid0(VALU_DEP_2) | instskip(NEXT) | instid1(VALU_DEP_1)
	v_sub_nc_u32_e32 v3, v0, v3
	v_lshlrev_b32_e32 v11, 2, v3
	s_delay_alu instid0(VALU_DEP_3) | instskip(SKIP_1) | instid1(VALU_DEP_4)
	v_add_co_u32 v0, s0, s4, v9
	s_wait_alu 0xf1ff
	v_add_co_ci_u32_e64 v4, s0, s5, v10, s0
	s_mov_b32 s4, exec_lo
	s_delay_alu instid0(VALU_DEP_2) | instskip(SKIP_1) | instid1(VALU_DEP_2)
	v_add_co_u32 v7, s0, v0, v7
	s_wait_alu 0xf1ff
	v_add_co_ci_u32_e64 v8, s0, v4, v8, s0
	v_add3_u32 v0, 0, v27, v11
	s_delay_alu instid0(VALU_DEP_3) | instskip(SKIP_1) | instid1(VALU_DEP_3)
	v_add_co_u32 v9, s0, v7, v11
	s_wait_alu 0xf1ff
	v_add_co_ci_u32_e64 v10, s0, 0, v8, s0
	s_clause 0xf
	global_load_b32 v4, v[9:10], off
	global_load_b32 v12, v[9:10], off offset:108
	global_load_b32 v13, v[9:10], off offset:216
	;; [unrolled: 1-line block ×15, first 2 shown]
	v_add_nc_u32_e32 v10, 0x400, v0
	s_wait_loadcnt 0xe
	ds_store_2addr_b32 v0, v4, v12 offset1:27
	s_wait_loadcnt 0xc
	ds_store_2addr_b32 v0, v13, v14 offset0:54 offset1:81
	s_wait_loadcnt 0xa
	ds_store_2addr_b32 v0, v15, v16 offset0:108 offset1:135
	;; [unrolled: 2-line block ×7, first 2 shown]
	v_cmpx_eq_u32_e32 26, v3
	s_cbranch_execz .LBB0_14
; %bb.13:
	global_load_b32 v4, v[7:8], off offset:1728
	v_mov_b32_e32 v3, 26
	s_wait_loadcnt 0x0
	ds_store_b32 v0, v4 offset:1624
.LBB0_14:
	s_wait_alu 0xfffe
	s_or_b32 exec_lo, exec_lo, s4
.LBB0_15:
	s_delay_alu instid0(SALU_CYCLE_1)
	s_or_b32 exec_lo, exec_lo, s1
	v_lshl_add_u32 v0, v26, 2, 0
	v_lshlrev_b32_e32 v4, 2, v3
	global_wb scope:SCOPE_SE
	s_wait_dscnt 0x0
	s_wait_kmcnt 0x0
	s_barrier_signal -1
	s_barrier_wait -1
	global_inv scope:SCOPE_SE
	v_add_nc_u32_e32 v28, v0, v4
	v_sub_nc_u32_e32 v9, v0, v4
	s_mov_b32 s1, exec_lo
                                        ; implicit-def: $vgpr7_vgpr8
	ds_load_u16 v12, v28
	ds_load_u16 v13, v9 offset:1728
	s_wait_dscnt 0x0
	v_add_f16_e32 v11, v13, v12
	v_sub_f16_e32 v10, v12, v13
	v_cmpx_ne_u32_e32 0, v3
	s_wait_alu 0xfffe
	s_xor_b32 s1, exec_lo, s1
	s_cbranch_execz .LBB0_17
; %bb.16:
	v_mov_b32_e32 v4, 0
	v_add_f16_e32 v11, v13, v12
	v_sub_f16_e32 v12, v12, v13
	s_delay_alu instid0(VALU_DEP_3) | instskip(NEXT) | instid1(VALU_DEP_1)
	v_lshlrev_b64_e32 v[7:8], 2, v[3:4]
	v_add_co_u32 v7, s0, s8, v7
	s_wait_alu 0xf1ff
	s_delay_alu instid0(VALU_DEP_2)
	v_add_co_ci_u32_e64 v8, s0, s9, v8, s0
	global_load_b32 v7, v[7:8], off offset:1716
	ds_load_u16 v8, v9 offset:1730
	ds_load_u16 v10, v28 offset:2
	s_wait_dscnt 0x0
	v_add_f16_e32 v13, v8, v10
	v_sub_f16_e32 v8, v10, v8
	s_wait_loadcnt 0x0
	v_lshrrev_b32_e32 v14, 16, v7
	s_delay_alu instid0(VALU_DEP_1) | instskip(NEXT) | instid1(VALU_DEP_3)
	v_fma_f16 v15, -v12, v14, v11
	v_fma_f16 v16, v13, v14, -v8
	v_fma_f16 v10, v13, v14, v8
	v_fma_f16 v11, v12, v14, v11
	s_delay_alu instid0(VALU_DEP_4) | instskip(NEXT) | instid1(VALU_DEP_4)
	v_fmac_f16_e32 v15, v7, v13
	v_fmac_f16_e32 v16, v12, v7
	s_delay_alu instid0(VALU_DEP_4) | instskip(NEXT) | instid1(VALU_DEP_4)
	v_fmac_f16_e32 v10, v12, v7
	v_fma_f16 v11, -v7, v13, v11
	v_dual_mov_b32 v8, v4 :: v_dual_mov_b32 v7, v3
	s_delay_alu instid0(VALU_DEP_4)
	v_pack_b32_f16 v12, v15, v16
	ds_store_b32 v9, v12 offset:1728
.LBB0_17:
	s_wait_alu 0xfffe
	s_and_not1_saveexec_b32 s0, s1
	s_cbranch_execz .LBB0_19
; %bb.18:
	ds_load_b32 v4, v0 offset:864
	v_mov_b32_e32 v7, 0
	v_mov_b32_e32 v8, 0
	s_wait_dscnt 0x0
	v_pk_mul_f16 v4, 0xc0004000, v4
	ds_store_b32 v0, v4 offset:864
.LBB0_19:
	s_wait_alu 0xfffe
	s_or_b32 exec_lo, exec_lo, s0
	v_lshlrev_b64_e32 v[7:8], 2, v[7:8]
	s_add_nc_u64 s[0:1], s[8:9], 0x6b4
	v_perm_b32 v10, v10, v11, 0x5040100
	v_lshl_add_u32 v29, v3, 2, 0
	s_wait_alu 0xfffe
	s_delay_alu instid0(VALU_DEP_3)
	v_add_co_u32 v7, s0, s0, v7
	s_wait_alu 0xf1ff
	v_add_co_ci_u32_e64 v8, s0, s1, v8, s0
	v_lshl_add_u32 v31, v3, 3, v29
	v_cmp_gt_u32_e64 s0, 9, v3
	s_clause 0x6
	global_load_b32 v4, v[7:8], off offset:108
	global_load_b32 v12, v[7:8], off offset:216
	;; [unrolled: 1-line block ×7, first 2 shown]
	ds_store_b32 v28, v10
	ds_load_b32 v8, v28 offset:108
	ds_load_b32 v10, v9 offset:1620
	v_add_nc_u32_e32 v33, v31, v27
	s_wait_dscnt 0x1
	v_lshrrev_b32_e32 v11, 16, v8
	s_wait_dscnt 0x0
	v_lshrrev_b32_e32 v17, 16, v10
	v_add_f16_e32 v18, v8, v10
	v_sub_f16_e32 v8, v8, v10
	s_delay_alu instid0(VALU_DEP_3) | instskip(SKIP_3) | instid1(VALU_DEP_1)
	v_add_f16_e32 v10, v17, v11
	v_sub_f16_e32 v11, v11, v17
	s_wait_loadcnt 0x6
	v_lshrrev_b32_e32 v19, 16, v4
	v_fma_f16 v17, v8, v19, v18
	s_delay_alu instid0(VALU_DEP_3) | instskip(SKIP_2) | instid1(VALU_DEP_4)
	v_fma_f16 v20, v10, v19, v11
	v_fma_f16 v18, -v8, v19, v18
	v_fma_f16 v11, v10, v19, -v11
	v_fma_f16 v17, -v4, v10, v17
	s_delay_alu instid0(VALU_DEP_4) | instskip(NEXT) | instid1(VALU_DEP_4)
	v_fmac_f16_e32 v20, v8, v4
	v_fmac_f16_e32 v18, v4, v10
	s_delay_alu instid0(VALU_DEP_4) | instskip(NEXT) | instid1(VALU_DEP_3)
	v_fmac_f16_e32 v11, v8, v4
	v_pack_b32_f16 v4, v17, v20
	s_wait_loadcnt 0x5
	v_lshrrev_b32_e32 v17, 16, v12
	s_delay_alu instid0(VALU_DEP_3)
	v_pack_b32_f16 v8, v18, v11
	ds_store_b32 v28, v4 offset:108
	ds_store_b32 v9, v8 offset:1620
	ds_load_b32 v4, v28 offset:216
	ds_load_b32 v8, v9 offset:1512
	s_wait_dscnt 0x1
	v_lshrrev_b32_e32 v10, 16, v4
	s_wait_dscnt 0x0
	v_lshrrev_b32_e32 v11, 16, v8
	v_add_f16_e32 v18, v4, v8
	v_sub_f16_e32 v4, v4, v8
	s_delay_alu instid0(VALU_DEP_3) | instskip(SKIP_1) | instid1(VALU_DEP_3)
	v_add_f16_e32 v8, v11, v10
	v_sub_f16_e32 v10, v10, v11
	v_fma_f16 v11, v4, v17, v18
	v_fma_f16 v18, -v4, v17, v18
	s_delay_alu instid0(VALU_DEP_3) | instskip(SKIP_1) | instid1(VALU_DEP_4)
	v_fma_f16 v19, v8, v17, v10
	v_fma_f16 v10, v8, v17, -v10
	v_fma_f16 v11, -v12, v8, v11
	s_delay_alu instid0(VALU_DEP_4) | instskip(NEXT) | instid1(VALU_DEP_4)
	v_fmac_f16_e32 v18, v12, v8
	v_fmac_f16_e32 v19, v4, v12
	s_delay_alu instid0(VALU_DEP_4) | instskip(SKIP_2) | instid1(VALU_DEP_3)
	v_fmac_f16_e32 v10, v4, v12
	s_wait_loadcnt 0x4
	v_lshrrev_b32_e32 v12, 16, v13
	v_pack_b32_f16 v4, v11, v19
	s_delay_alu instid0(VALU_DEP_3)
	v_pack_b32_f16 v8, v18, v10
	ds_store_b32 v28, v4 offset:216
	ds_store_b32 v9, v8 offset:1512
	ds_load_b32 v4, v28 offset:324
	ds_load_b32 v8, v9 offset:1404
	s_wait_dscnt 0x1
	v_lshrrev_b32_e32 v10, 16, v4
	s_wait_dscnt 0x0
	v_lshrrev_b32_e32 v11, 16, v8
	v_add_f16_e32 v17, v4, v8
	v_sub_f16_e32 v4, v4, v8
	s_delay_alu instid0(VALU_DEP_3) | instskip(SKIP_1) | instid1(VALU_DEP_3)
	v_add_f16_e32 v8, v11, v10
	v_sub_f16_e32 v10, v10, v11
	v_fma_f16 v11, v4, v12, v17
	v_fma_f16 v17, -v4, v12, v17
	s_delay_alu instid0(VALU_DEP_3) | instskip(SKIP_1) | instid1(VALU_DEP_4)
	v_fma_f16 v18, v8, v12, v10
	v_fma_f16 v10, v8, v12, -v10
	v_fma_f16 v11, -v13, v8, v11
	s_delay_alu instid0(VALU_DEP_4) | instskip(SKIP_4) | instid1(VALU_DEP_2)
	v_fmac_f16_e32 v17, v13, v8
	s_wait_loadcnt 0x3
	v_lshrrev_b32_e32 v12, 16, v14
	v_fmac_f16_e32 v18, v4, v13
	v_fmac_f16_e32 v10, v4, v13
	v_pack_b32_f16 v4, v11, v18
	s_delay_alu instid0(VALU_DEP_2)
	v_pack_b32_f16 v8, v17, v10
	ds_store_b32 v28, v4 offset:324
	ds_store_b32 v9, v8 offset:1404
	ds_load_b32 v4, v28 offset:432
	ds_load_b32 v8, v9 offset:1296
	s_wait_dscnt 0x1
	v_lshrrev_b32_e32 v10, 16, v4
	s_wait_dscnt 0x0
	v_lshrrev_b32_e32 v11, 16, v8
	v_add_f16_e32 v13, v4, v8
	v_sub_f16_e32 v4, v4, v8
	s_delay_alu instid0(VALU_DEP_3) | instskip(SKIP_1) | instid1(VALU_DEP_3)
	v_add_f16_e32 v8, v11, v10
	v_sub_f16_e32 v10, v10, v11
	v_fma_f16 v11, v4, v12, v13
	v_fma_f16 v13, -v4, v12, v13
	s_delay_alu instid0(VALU_DEP_3) | instskip(SKIP_1) | instid1(VALU_DEP_4)
	v_fma_f16 v17, v8, v12, v10
	v_fma_f16 v10, v8, v12, -v10
	v_fma_f16 v11, -v14, v8, v11
	s_delay_alu instid0(VALU_DEP_4) | instskip(SKIP_4) | instid1(VALU_DEP_2)
	v_fmac_f16_e32 v13, v14, v8
	s_wait_loadcnt 0x2
	v_lshrrev_b32_e32 v12, 16, v15
	v_fmac_f16_e32 v17, v4, v14
	v_fmac_f16_e32 v10, v4, v14
	v_pack_b32_f16 v4, v11, v17
	s_delay_alu instid0(VALU_DEP_2)
	;; [unrolled: 28-line block ×4, first 2 shown]
	v_pack_b32_f16 v8, v13, v10
	ds_store_b32 v28, v4 offset:648
	ds_store_b32 v9, v8 offset:1080
	ds_load_b32 v4, v28 offset:756
	ds_load_b32 v8, v9 offset:972
	s_wait_dscnt 0x1
	v_lshrrev_b32_e32 v10, 16, v4
	s_wait_dscnt 0x0
	v_lshrrev_b32_e32 v11, 16, v8
	v_add_f16_e32 v13, v4, v8
	v_sub_f16_e32 v4, v4, v8
	s_delay_alu instid0(VALU_DEP_3) | instskip(SKIP_1) | instid1(VALU_DEP_3)
	v_add_f16_e32 v8, v11, v10
	v_sub_f16_e32 v10, v10, v11
	v_fma_f16 v11, v4, v12, v13
	v_fma_f16 v13, -v4, v12, v13
	s_delay_alu instid0(VALU_DEP_3) | instskip(SKIP_1) | instid1(VALU_DEP_4)
	v_fma_f16 v14, v8, v12, v10
	v_fma_f16 v10, v8, v12, -v10
	v_fma_f16 v11, -v7, v8, v11
	s_delay_alu instid0(VALU_DEP_4) | instskip(NEXT) | instid1(VALU_DEP_4)
	v_fmac_f16_e32 v13, v7, v8
	v_fmac_f16_e32 v14, v4, v7
	s_delay_alu instid0(VALU_DEP_4) | instskip(SKIP_1) | instid1(VALU_DEP_3)
	v_fmac_f16_e32 v10, v4, v7
	v_add_nc_u32_e32 v4, v29, v27
	v_pack_b32_f16 v7, v11, v14
	s_delay_alu instid0(VALU_DEP_3) | instskip(NEXT) | instid1(VALU_DEP_3)
	v_pack_b32_f16 v8, v13, v10
	v_add_nc_u32_e32 v11, 0x400, v4
	ds_store_b32 v28, v7 offset:756
	ds_store_b32 v9, v8 offset:972
	global_wb scope:SCOPE_SE
	s_wait_dscnt 0x0
	s_barrier_signal -1
	s_barrier_wait -1
	global_inv scope:SCOPE_SE
	global_wb scope:SCOPE_SE
	s_barrier_signal -1
	s_barrier_wait -1
	global_inv scope:SCOPE_SE
	ds_load_2addr_b32 v[7:8], v11 offset0:23 offset1:32
	ds_load_b32 v12, v4 offset:1692
	ds_load_2addr_b32 v[9:10], v4 offset0:135 offset1:144
	ds_load_b32 v30, v28
	ds_load_2addr_b32 v[14:15], v4 offset0:27 offset1:54
	ds_load_2addr_b32 v[16:17], v4 offset0:171 offset1:198
	;; [unrolled: 1-line block ×6, first 2 shown]
	v_add_nc_u32_e32 v13, 0x510, v31
	global_wb scope:SCOPE_SE
	s_wait_dscnt 0x0
	s_barrier_signal -1
	s_barrier_wait -1
	global_inv scope:SCOPE_SE
	v_add_nc_u32_e32 v34, v13, v27
	v_pk_add_f16 v31, v7, v12
	v_pk_add_f16 v36, v10, v8
	;; [unrolled: 1-line block ×3, first 2 shown]
	v_pk_add_f16 v10, v10, v8 neg_lo:[0,1] neg_hi:[0,1]
	v_pk_add_f16 v37, v14, v16
	v_pk_add_f16 v38, v16, v18
	v_pk_add_f16 v16, v16, v18 neg_lo:[0,1] neg_hi:[0,1]
	v_pk_add_f16 v39, v15, v17
	v_pk_add_f16 v40, v17, v19
	v_pk_add_f16 v17, v17, v19 neg_lo:[0,1] neg_hi:[0,1]
	v_pk_add_f16 v32, v7, v12 neg_lo:[0,1] neg_hi:[0,1]
	v_pk_add_f16 v41, v20, v22
	v_pk_add_f16 v42, v22, v24
	v_pk_add_f16 v22, v22, v24 neg_lo:[0,1] neg_hi:[0,1]
	v_pk_add_f16 v43, v21, v23
	v_pk_add_f16 v44, v23, v25
	v_pk_add_f16 v23, v23, v25 neg_lo:[0,1] neg_hi:[0,1]
	v_pk_fma_f16 v45, v31, 0.5, v9 op_sel_hi:[1,0,1] neg_lo:[1,0,0] neg_hi:[1,0,0]
	v_pk_add_f16 v35, v35, v8
	v_pk_fma_f16 v8, v36, 0.5, v30 op_sel_hi:[1,0,1] neg_lo:[1,0,0] neg_hi:[1,0,0]
	v_pk_mul_f16 v10, 0x3aee, v10 op_sel_hi:[0,1]
	v_pk_fma_f16 v14, v38, 0.5, v14 op_sel_hi:[1,0,1] neg_lo:[1,0,0] neg_hi:[1,0,0]
	v_pk_mul_f16 v16, 0x3aee, v16 op_sel_hi:[0,1]
	;; [unrolled: 2-line block ×5, first 2 shown]
	v_pk_fma_f16 v31, 0x3aee, v32, v45 op_sel:[0,0,1] op_sel_hi:[0,1,0]
	v_pk_add_f16 v30, v8, v10 op_sel:[0,1] op_sel_hi:[1,0]
	v_pk_add_f16 v10, v8, v10 op_sel:[0,1] op_sel_hi:[1,0] neg_lo:[0,1] neg_hi:[0,1]
	v_pk_add_f16 v36, v14, v16 op_sel:[0,1] op_sel_hi:[1,0]
	v_pk_add_f16 v14, v14, v16 op_sel:[0,1] op_sel_hi:[1,0] neg_lo:[0,1] neg_hi:[0,1]
	;; [unrolled: 2-line block ×3, first 2 shown]
	v_pk_fma_f16 v32, 0x3aee, v32, v45 op_sel:[0,0,1] op_sel_hi:[0,1,0] neg_lo:[0,1,0] neg_hi:[0,1,0]
	v_pk_add_f16 v17, v20, v22 op_sel:[0,1] op_sel_hi:[1,0]
	v_pk_add_f16 v20, v20, v22 op_sel:[0,1] op_sel_hi:[1,0] neg_lo:[0,1] neg_hi:[0,1]
	v_pk_add_f16 v22, v21, v23 op_sel:[0,1] op_sel_hi:[1,0]
	v_pk_add_f16 v21, v21, v23 op_sel:[0,1] op_sel_hi:[1,0] neg_lo:[0,1] neg_hi:[0,1]
	v_lshrrev_b32_e32 v8, 16, v31
	v_bfi_b32 v23, 0xffff, v30, v10
	v_bfi_b32 v10, 0xffff, v10, v30
	;; [unrolled: 1-line block ×4, first 2 shown]
	v_pk_add_f16 v24, v41, v24
	v_bfi_b32 v36, 0xffff, v16, v15
	v_bfi_b32 v15, 0xffff, v15, v16
	v_pk_add_f16 v18, v37, v18
	v_pk_add_f16 v19, v39, v19
	;; [unrolled: 1-line block ×3, first 2 shown]
	v_bfi_b32 v16, 0xffff, v17, v20
	v_bfi_b32 v17, 0xffff, v20, v17
	;; [unrolled: 1-line block ×4, first 2 shown]
	ds_store_2addr_b32 v33, v10, v14 offset0:2 offset1:83
	ds_store_2addr_b32 v33, v15, v24 offset0:164 offset1:243
	ds_store_2addr_b32 v33, v35, v23 offset1:1
	ds_store_2addr_b32 v33, v18, v30 offset0:81 offset1:82
	ds_store_2addr_b32 v33, v19, v36 offset0:162 offset1:163
	;; [unrolled: 1-line block ×3, first 2 shown]
	ds_store_b32 v34, v25
	ds_store_2addr_b32 v34, v20, v21 offset0:1 offset1:2
	s_and_saveexec_b32 s1, s0
	s_cbranch_execz .LBB0_21
; %bb.20:
	v_pk_add_f16 v7, v9, v7
	v_lshl_add_u32 v9, v26, 2, v13
	s_delay_alu instid0(VALU_DEP_2)
	v_pk_add_f16 v7, v7, v12
	ds_store_b32 v9, v7 offset:324
	ds_store_b16 v9, v8 offset:328
	ds_store_b32 v9, v32 offset:330
	ds_store_b16 v9, v31 offset:334
.LBB0_21:
	s_wait_alu 0xfffe
	s_or_b32 exec_lo, exec_lo, s1
	v_and_b32_e32 v7, 0xff, v3
	global_wb scope:SCOPE_SE
	s_wait_dscnt 0x0
	s_barrier_signal -1
	s_barrier_wait -1
	global_inv scope:SCOPE_SE
	v_mul_lo_u16 v7, 0xab, v7
	s_delay_alu instid0(VALU_DEP_1) | instskip(NEXT) | instid1(VALU_DEP_1)
	v_lshrrev_b16 v7, 9, v7
	v_mul_lo_u16 v9, v7, 3
	v_and_b32_e32 v7, 0xffff, v7
	s_delay_alu instid0(VALU_DEP_2) | instskip(NEXT) | instid1(VALU_DEP_2)
	v_sub_nc_u16 v9, v3, v9
	v_mul_u32_u24_e32 v7, 48, v7
	s_delay_alu instid0(VALU_DEP_2) | instskip(NEXT) | instid1(VALU_DEP_1)
	v_and_b32_e32 v10, 0xff, v9
	v_mul_u32_u24_e32 v9, 15, v10
	s_delay_alu instid0(VALU_DEP_3) | instskip(NEXT) | instid1(VALU_DEP_2)
	v_or_b32_e32 v7, v7, v10
	v_lshlrev_b32_e32 v9, 2, v9
	s_delay_alu instid0(VALU_DEP_2)
	v_lshlrev_b32_e32 v7, 2, v7
	s_clause 0x3
	global_load_b128 v[12:15], v9, s[8:9]
	global_load_b128 v[16:19], v9, s[8:9] offset:16
	global_load_b128 v[20:23], v9, s[8:9] offset:32
	global_load_b96 v[33:35], v9, s[8:9] offset:48
	v_add_nc_u32_e32 v9, 0x200, v4
	ds_load_2addr_b32 v[24:25], v4 offset0:81 offset1:108
	ds_load_2addr_b32 v[36:37], v4 offset0:135 offset1:162
	;; [unrolled: 1-line block ×6, first 2 shown]
	ds_load_b32 v30, v4 offset:1620
	v_add3_u32 v64, 0, v7, v27
	ds_load_b32 v48, v28
	ds_load_2addr_b32 v[46:47], v9 offset0:115 offset1:142
	global_wb scope:SCOPE_SE
	s_wait_loadcnt_dscnt 0x0
	s_barrier_signal -1
	s_barrier_wait -1
	global_inv scope:SCOPE_SE
	v_lshrrev_b32_e32 v49, 16, v25
	v_lshrrev_b32_e32 v50, 16, v36
	;; [unrolled: 1-line block ×31, first 2 shown]
	v_mul_f16_e32 v79, v7, v59
	v_mul_f16_e32 v7, v7, v44
	;; [unrolled: 1-line block ×30, first 2 shown]
	v_fma_f16 v44, v12, v44, -v79
	v_fmac_f16_e32 v7, v12, v59
	v_fma_f16 v12, v13, v45, -v80
	v_fmac_f16_e32 v65, v13, v60
	;; [unrolled: 2-line block ×15, first 2 shown]
	v_sub_f16_e32 v17, v48, v17
	v_sub_f16_e32 v25, v61, v71
	;; [unrolled: 1-line block ×16, first 2 shown]
	v_fma_f16 v39, v48, 2.0, -v17
	v_fma_f16 v40, v61, 2.0, -v25
	;; [unrolled: 1-line block ×16, first 2 shown]
	v_sub_f16_e32 v30, v17, v30
	v_add_f16_e32 v21, v25, v21
	v_sub_f16_e32 v34, v19, v34
	v_add_f16_e32 v23, v33, v23
	;; [unrolled: 2-line block ×4, first 2 shown]
	v_sub_f16_e32 v10, v39, v10
	v_sub_f16_e32 v41, v40, v41
	v_fma_f16 v17, v17, 2.0, -v30
	v_fma_f16 v25, v25, 2.0, -v21
	v_sub_f16_e32 v15, v12, v15
	v_sub_f16_e32 v43, v42, v43
	v_fma_f16 v19, v19, 2.0, -v34
	v_fma_f16 v33, v33, 2.0, -v23
	;; [unrolled: 4-line block ×4, first 2 shown]
	v_fmamk_f16 v48, v34, 0x39a8, v30
	v_fmamk_f16 v49, v23, 0x39a8, v21
	;; [unrolled: 1-line block ×4, first 2 shown]
	v_fma_f16 v39, v39, 2.0, -v10
	v_fma_f16 v40, v40, 2.0, -v41
	;; [unrolled: 1-line block ×8, first 2 shown]
	v_fmamk_f16 v46, v19, 0xb9a8, v17
	v_fmamk_f16 v53, v33, 0xb9a8, v25
	v_fmac_f16_e32 v48, 0xb9a8, v23
	v_fmac_f16_e32 v49, 0x39a8, v34
	v_fmamk_f16 v23, v20, 0xb9a8, v18
	v_fmamk_f16 v34, v37, 0xb9a8, v35
	v_sub_f16_e32 v43, v10, v43
	v_add_f16_e32 v15, v41, v15
	v_sub_f16_e32 v47, v14, v47
	v_add_f16_e32 v16, v45, v16
	v_fmac_f16_e32 v50, 0xb9a8, v24
	v_fmac_f16_e32 v51, 0x39a8, v38
	v_sub_f16_e32 v12, v39, v12
	v_sub_f16_e32 v24, v40, v42
	v_fmac_f16_e32 v46, 0xb9a8, v33
	v_fmac_f16_e32 v53, 0x39a8, v19
	v_sub_f16_e32 v38, v44, v7
	v_sub_f16_e32 v13, v52, v13
	v_fmac_f16_e32 v23, 0xb9a8, v37
	v_fmac_f16_e32 v34, 0x39a8, v20
	v_fma_f16 v10, v10, 2.0, -v43
	v_fma_f16 v19, v41, 2.0, -v15
	;; [unrolled: 1-line block ×8, first 2 shown]
	v_fmamk_f16 v37, v47, 0x39a8, v43
	v_fmamk_f16 v41, v16, 0x39a8, v15
	;; [unrolled: 1-line block ×4, first 2 shown]
	v_fma_f16 v39, v39, 2.0, -v12
	v_fma_f16 v40, v40, 2.0, -v24
	v_fma_f16 v17, v17, 2.0, -v46
	v_fma_f16 v25, v25, 2.0, -v53
	v_fma_f16 v42, v44, 2.0, -v38
	v_fma_f16 v44, v52, 2.0, -v13
	v_fma_f16 v18, v18, 2.0, -v23
	v_fma_f16 v35, v35, 2.0, -v34
	v_fmamk_f16 v45, v14, 0xb9a8, v10
	v_fmamk_f16 v52, v20, 0xb9a8, v19
	;; [unrolled: 1-line block ×6, first 2 shown]
	v_sub_f16_e32 v13, v12, v13
	v_add_f16_e32 v38, v24, v38
	v_fmac_f16_e32 v37, 0xb9a8, v16
	v_fmac_f16_e32 v41, 0x39a8, v47
	;; [unrolled: 1-line block ×4, first 2 shown]
	v_sub_f16_e32 v16, v39, v42
	v_sub_f16_e32 v42, v40, v44
	v_fmamk_f16 v44, v18, 0xbb64, v17
	v_fmamk_f16 v47, v35, 0xbb64, v25
	v_fmac_f16_e32 v45, 0xb9a8, v20
	v_fmac_f16_e32 v52, 0x39a8, v14
	;; [unrolled: 1-line block ×6, first 2 shown]
	v_fma_f16 v12, v12, 2.0, -v13
	v_fma_f16 v14, v24, 2.0, -v38
	;; [unrolled: 1-line block ×6, first 2 shown]
	v_pack_b32_f16 v24, v37, v41
	v_pack_b32_f16 v34, v7, v30
	v_fmac_f16_e32 v44, 0xb61f, v35
	v_fmac_f16_e32 v47, 0x361f, v18
	v_fma_f16 v10, v10, 2.0, -v45
	v_fma_f16 v18, v19, 2.0, -v52
	;; [unrolled: 1-line block ×6, first 2 shown]
	v_pack_b32_f16 v12, v12, v14
	v_pack_b32_f16 v14, v20, v15
	v_pack_b32_f16 v15, v22, v23
	v_fma_f16 v36, v39, 2.0, -v16
	v_fma_f16 v37, v40, 2.0, -v42
	ds_store_2addr_b32 v64, v24, v34 offset0:42 offset1:45
	v_fma_f16 v17, v17, 2.0, -v44
	v_fma_f16 v24, v25, 2.0, -v47
	v_pack_b32_f16 v13, v13, v38
	v_pack_b32_f16 v20, v45, v52
	;; [unrolled: 1-line block ×8, first 2 shown]
	ds_store_2addr_b32 v64, v14, v15 offset0:18 offset1:21
	v_pack_b32_f16 v14, v44, v47
	v_pack_b32_f16 v25, v36, v37
	;; [unrolled: 1-line block ×3, first 2 shown]
	ds_store_2addr_b32 v64, v20, v22 offset0:30 offset1:33
	ds_store_2addr_b32 v64, v13, v23 offset0:36 offset1:39
	;; [unrolled: 1-line block ×5, first 2 shown]
	ds_store_2addr_b32 v64, v25, v15 offset1:3
	global_wb scope:SCOPE_SE
	s_wait_dscnt 0x0
	s_barrier_signal -1
	s_barrier_wait -1
	global_inv scope:SCOPE_SE
	ds_load_b32 v37, v28
	ds_load_2addr_b32 v[24:25], v4 offset0:144 offset1:171
	ds_load_2addr_b32 v[16:17], v9 offset0:124 offset1:160
	;; [unrolled: 1-line block ×7, first 2 shown]
	v_lshrrev_b32_e32 v38, 16, v32
	s_and_saveexec_b32 s1, s0
	s_cbranch_execz .LBB0_23
; %bb.22:
	ds_load_2addr_b32 v[7:8], v9 offset0:7 offset1:151
	ds_load_b32 v38, v4 offset:1692
	s_wait_dscnt 0x1
	v_lshrrev_b32_e32 v30, 16, v7
	v_lshrrev_b32_e32 v32, 16, v8
	s_wait_dscnt 0x0
	v_lshrrev_b32_e32 v31, 16, v38
.LBB0_23:
	s_wait_alu 0xfffe
	s_or_b32 exec_lo, exec_lo, s1
	v_add_nc_u32_e32 v36, 27, v3
	v_subrev_nc_u32_e32 v9, 21, v3
	v_cmp_gt_u32_e64 s1, 21, v3
	v_dual_mov_b32 v40, 0 :: v_dual_lshlrev_b32 v39, 1, v3
	v_add_nc_u32_e32 v34, 0x51, v3
	v_add_nc_u32_e32 v35, 0x6c, v3
	s_wait_alu 0xf1ff
	v_cndmask_b32_e64 v9, v9, v36, s1
	v_dual_mov_b32 v42, v40 :: v_dual_add_nc_u32 v33, 0x87, v3
	v_lshlrev_b64_e32 v[10:11], 2, v[39:40]
	v_add_nc_u32_e32 v39, 12, v39
	s_delay_alu instid0(VALU_DEP_4)
	v_lshlrev_b32_e32 v41, 1, v9
	v_and_b32_e32 v45, 0xff, v34
	v_and_b32_e32 v46, 0xff, v35
	;; [unrolled: 1-line block ×3, first 2 shown]
	v_add_co_u32 v10, s1, s8, v10
	v_lshlrev_b64_e32 v[41:42], 2, v[41:42]
	v_lshlrev_b64_e32 v[39:40], 2, v[39:40]
	s_wait_alu 0xf1ff
	v_add_co_ci_u32_e64 v11, s1, s9, v11, s1
	v_mul_lo_u16 v48, 0xab, v45
	v_mul_lo_u16 v49, 0xab, v46
	v_add_co_u32 v41, s1, s8, v41
	s_wait_alu 0xf1ff
	v_add_co_ci_u32_e64 v42, s1, s9, v42, s1
	v_add_co_u32 v39, s1, s8, v39
	s_wait_alu 0xf1ff
	v_add_co_ci_u32_e64 v40, s1, s9, v40, s1
	s_clause 0x1
	global_load_b64 v[43:44], v[10:11], off offset:180
	global_load_b64 v[41:42], v[41:42], off offset:180
	v_cmp_lt_u32_e64 s1, 20, v3
	global_load_b64 v[45:46], v[39:40], off offset:180
	v_mul_lo_u16 v39, 0xab, v47
	v_lshrrev_b16 v40, 13, v48
	v_lshrrev_b16 v47, 13, v49
	s_wait_alu 0xf1ff
	v_cndmask_b32_e64 v63, 0, 0x240, s1
	v_lshlrev_b32_e32 v9, 2, v9
	v_lshrrev_b16 v39, 13, v39
	v_mul_lo_u16 v48, v40, 48
	v_mul_lo_u16 v47, v47, 48
	v_add_nc_u32_e32 v63, 0, v63
	v_and_b32_e32 v40, 0xffff, v40
	v_mul_lo_u16 v39, v39, 48
	v_sub_nc_u16 v48, v34, v48
	v_sub_nc_u16 v47, v35, v47
	s_wait_dscnt 0x6
	v_lshrrev_b32_e32 v64, 16, v24
	s_wait_dscnt 0x5
	v_lshrrev_b32_e32 v65, 16, v17
	v_sub_nc_u16 v39, v33, v39
	v_and_b32_e32 v53, 0xff, v48
	v_and_b32_e32 v54, 0xff, v47
	v_add3_u32 v9, v63, v9, v27
	v_mad_u32_u24 v40, 0x240, v40, 0
	v_and_b32_e32 v39, 0xff, v39
	v_lshlrev_b32_e32 v47, 3, v53
	v_lshlrev_b32_e32 v49, 3, v54
	;; [unrolled: 1-line block ×3, first 2 shown]
	v_lshrrev_b32_e32 v55, 16, v37
	v_lshlrev_b32_e32 v51, 3, v39
	s_clause 0x2
	global_load_b64 v[47:48], v47, s[8:9] offset:180
	global_load_b64 v[49:50], v49, s[8:9] offset:180
	;; [unrolled: 1-line block ×3, first 2 shown]
	v_add3_u32 v40, v40, v53, v27
	v_lshrrev_b32_e32 v66, 16, v25
	s_wait_dscnt 0x3
	v_lshrrev_b32_e32 v67, 16, v22
	s_wait_dscnt 0x2
	v_lshrrev_b32_e32 v68, 16, v20
	v_lshrrev_b32_e32 v69, 16, v23
	v_lshrrev_b32_e32 v56, 16, v14
	v_lshrrev_b32_e32 v57, 16, v15
	s_wait_dscnt 0x0
	v_lshrrev_b32_e32 v59, 16, v18
	v_lshrrev_b32_e32 v70, 16, v21
	;; [unrolled: 1-line block ×6, first 2 shown]
	global_wb scope:SCOPE_SE
	s_wait_loadcnt 0x0
	s_barrier_signal -1
	s_barrier_wait -1
	global_inv scope:SCOPE_SE
	v_lshlrev_b32_e32 v54, 2, v54
	s_delay_alu instid0(VALU_DEP_1) | instskip(NEXT) | instid1(VALU_DEP_1)
	v_add3_u32 v54, 0, v54, v27
	v_add_nc_u32_e32 v73, 0x400, v54
	v_lshrrev_b32_e32 v63, 16, v43
	v_lshrrev_b32_e32 v71, 16, v44
	s_delay_alu instid0(VALU_DEP_2) | instskip(SKIP_1) | instid1(VALU_DEP_3)
	v_mul_f16_e32 v53, v63, v64
	v_mul_f16_e32 v63, v63, v24
	;; [unrolled: 1-line block ×4, first 2 shown]
	s_delay_alu instid0(VALU_DEP_4) | instskip(NEXT) | instid1(VALU_DEP_4)
	v_fma_f16 v24, v43, v24, -v53
	v_fmac_f16_e32 v63, v43, v64
	s_delay_alu instid0(VALU_DEP_4)
	v_fma_f16 v17, v44, v17, -v72
	v_lshrrev_b32_e32 v43, 16, v41
	v_fmac_f16_e32 v71, v44, v65
	v_lshrrev_b32_e32 v44, 16, v42
	v_lshrrev_b32_e32 v53, 16, v45
	;; [unrolled: 1-line block ×3, first 2 shown]
	v_mul_f16_e32 v65, v43, v66
	v_mul_f16_e32 v43, v43, v25
	;; [unrolled: 1-line block ×8, first 2 shown]
	v_add_f16_e32 v76, v37, v24
	v_add_f16_e32 v77, v24, v17
	v_sub_f16_e32 v78, v63, v71
	v_add_f16_e32 v79, v55, v63
	v_add_f16_e32 v63, v63, v71
	v_sub_f16_e32 v24, v24, v17
	v_fma_f16 v25, v41, v25, -v65
	v_fmac_f16_e32 v43, v41, v66
	v_fma_f16 v22, v42, v22, -v72
	v_fmac_f16_e32 v44, v42, v67
	;; [unrolled: 2-line block ×3, first 2 shown]
	v_fmac_f16_e32 v64, v46, v69
	v_add_f16_e32 v17, v76, v17
	v_fmac_f16_e32 v37, -0.5, v77
	v_add_f16_e32 v41, v79, v71
	v_fmac_f16_e32 v55, -0.5, v63
	v_lshrrev_b32_e32 v42, 16, v47
	v_lshrrev_b32_e32 v45, 16, v48
	v_fma_f16 v23, v46, v23, -v75
	v_lshrrev_b32_e32 v46, 16, v49
	v_lshrrev_b32_e32 v63, 16, v50
	;; [unrolled: 1-line block ×4, first 2 shown]
	v_fmamk_f16 v67, v78, 0x3aee, v37
	v_fmac_f16_e32 v37, 0xbaee, v78
	v_fmamk_f16 v68, v24, 0xbaee, v55
	v_fmac_f16_e32 v55, 0x3aee, v24
	v_add_f16_e32 v24, v14, v25
	v_add_f16_e32 v69, v25, v22
	v_sub_f16_e32 v71, v43, v44
	v_add_f16_e32 v72, v56, v43
	v_add_f16_e32 v43, v43, v44
	;; [unrolled: 1-line block ×3, first 2 shown]
	v_sub_f16_e32 v76, v53, v64
	v_add_f16_e32 v77, v57, v53
	v_add_f16_e32 v53, v53, v64
	v_pack_b32_f16 v17, v17, v41
	v_mul_f16_e32 v41, v42, v70
	v_mul_f16_e32 v42, v42, v21
	;; [unrolled: 1-line block ×4, first 2 shown]
	v_add_f16_e32 v75, v20, v23
	v_mul_f16_e32 v79, v61, v46
	v_mul_f16_e32 v46, v16, v46
	;; [unrolled: 1-line block ×4, first 2 shown]
	v_sub_f16_e32 v25, v25, v22
	v_sub_f16_e32 v20, v20, v23
	v_mul_f16_e32 v81, v32, v65
	v_mul_f16_e32 v65, v8, v65
	;; [unrolled: 1-line block ×4, first 2 shown]
	v_add_f16_e32 v22, v24, v22
	v_fma_f16 v14, -0.5, v69, v14
	v_add_f16_e32 v24, v72, v44
	v_fmac_f16_e32 v56, -0.5, v43
	v_add_f16_e32 v23, v74, v23
	v_add_f16_e32 v43, v77, v64
	v_fmac_f16_e32 v57, -0.5, v53
	v_pack_b32_f16 v44, v67, v68
	v_fma_f16 v21, v47, v21, -v41
	v_fmac_f16_e32 v42, v47, v70
	v_fma_f16 v18, v18, v48, -v78
	v_fmac_f16_e32 v45, v59, v48
	v_pack_b32_f16 v37, v37, v55
	v_fmac_f16_e32 v15, -0.5, v75
	v_fma_f16 v16, v16, v49, -v79
	v_fmac_f16_e32 v46, v61, v49
	v_fma_f16 v19, v19, v50, -v80
	v_fmac_f16_e32 v63, v62, v50
	;; [unrolled: 2-line block ×4, first 2 shown]
	v_fmamk_f16 v31, v71, 0x3aee, v14
	v_fmamk_f16 v38, v25, 0xbaee, v56
	;; [unrolled: 1-line block ×3, first 2 shown]
	v_fmac_f16_e32 v57, 0x3aee, v20
	ds_store_2addr_b32 v4, v17, v44 offset1:48
	ds_store_b32 v4, v37 offset:384
	v_pack_b32_f16 v17, v22, v24
	v_pack_b32_f16 v20, v23, v43
	v_add_f16_e32 v23, v21, v18
	v_sub_f16_e32 v24, v42, v45
	v_add_f16_e32 v37, v58, v42
	v_add_f16_e32 v42, v42, v45
	v_fmac_f16_e32 v14, 0xbaee, v71
	v_fmac_f16_e32 v56, 0x3aee, v25
	v_fmamk_f16 v25, v76, 0x3aee, v15
	v_add_f16_e32 v44, v16, v19
	v_sub_f16_e32 v47, v46, v63
	v_add_f16_e32 v48, v60, v46
	v_add_f16_e32 v46, v46, v63
	v_fmac_f16_e32 v15, 0xbaee, v76
	v_add_f16_e32 v22, v12, v21
	v_sub_f16_e32 v21, v21, v18
	v_add_f16_e32 v50, v8, v32
	v_add_f16_e32 v53, v65, v66
	v_pack_b32_f16 v38, v31, v38
	v_fma_f16 v12, -0.5, v23, v12
	v_fmac_f16_e32 v58, -0.5, v42
	v_pack_b32_f16 v14, v14, v56
	v_add_f16_e32 v43, v13, v16
	v_sub_f16_e32 v16, v16, v19
	v_pack_b32_f16 v25, v25, v41
	v_fmac_f16_e32 v13, -0.5, v44
	v_fmac_f16_e32 v60, -0.5, v46
	v_pack_b32_f16 v15, v15, v57
	v_add_f16_e32 v49, v7, v8
	v_sub_f16_e32 v51, v65, v66
	v_add_f16_e32 v52, v30, v65
	v_sub_f16_e32 v55, v8, v32
	v_add_f16_e32 v18, v22, v18
	v_add_f16_e32 v22, v37, v45
	v_fmac_f16_e32 v7, -0.5, v50
	v_fmac_f16_e32 v30, -0.5, v53
	ds_store_2addr_b32 v9, v17, v38 offset1:48
	ds_store_b32 v9, v14 offset:384
	ds_store_2addr_b32 v4, v20, v25 offset0:150 offset1:198
	ds_store_b32 v4, v15 offset:984
	v_fmamk_f16 v14, v24, 0x3aee, v12
	v_fmamk_f16 v15, v21, 0xbaee, v58
	v_fmac_f16_e32 v12, 0xbaee, v24
	v_fmac_f16_e32 v58, 0x3aee, v21
	v_add_f16_e32 v19, v43, v19
	v_add_f16_e32 v23, v48, v63
	v_fmamk_f16 v17, v47, 0x3aee, v13
	v_fmamk_f16 v20, v16, 0xbaee, v60
	v_fmac_f16_e32 v13, 0xbaee, v47
	v_fmac_f16_e32 v60, 0x3aee, v16
	v_add_f16_e32 v8, v49, v32
	v_add_f16_e32 v31, v52, v66
	v_fmamk_f16 v9, v51, 0x3aee, v7
	v_fmac_f16_e32 v7, 0xbaee, v51
	v_fmamk_f16 v32, v55, 0xbaee, v30
	v_pack_b32_f16 v16, v18, v22
	v_pack_b32_f16 v14, v14, v15
	v_fmac_f16_e32 v30, 0x3aee, v55
	v_pack_b32_f16 v12, v12, v58
	v_pack_b32_f16 v18, v19, v23
	;; [unrolled: 1-line block ×4, first 2 shown]
	ds_store_2addr_b32 v40, v16, v14 offset1:48
	ds_store_b32 v40, v12 offset:384
	ds_store_2addr_b32 v73, v18, v15 offset0:32 offset1:80
	ds_store_b32 v54, v13 offset:1536
	s_and_saveexec_b32 s1, s0
	s_cbranch_execz .LBB0_25
; %bb.24:
	v_lshlrev_b32_e32 v12, 2, v39
	v_perm_b32 v13, v31, v8, 0x5040100
	v_perm_b32 v14, v32, v9, 0x5040100
	;; [unrolled: 1-line block ×3, first 2 shown]
	s_delay_alu instid0(VALU_DEP_4) | instskip(NEXT) | instid1(VALU_DEP_1)
	v_add3_u32 v12, 0, v12, v27
	v_add_nc_u32_e32 v15, 0x400, v12
	ds_store_2addr_b32 v15, v13, v14 offset0:32 offset1:80
	ds_store_b32 v12, v16 offset:1536
.LBB0_25:
	s_wait_alu 0xfffe
	s_or_b32 exec_lo, exec_lo, s1
	v_add_nc_u32_e32 v37, 0x200, v4
	v_add_nc_u32_e32 v18, 0x400, v4
	global_wb scope:SCOPE_SE
	s_wait_dscnt 0x0
	s_barrier_signal -1
	s_barrier_wait -1
	global_inv scope:SCOPE_SE
	ds_load_b32 v27, v28
	ds_load_2addr_b32 v[24:25], v4 offset0:144 offset1:171
	ds_load_2addr_b32 v[16:17], v37 offset0:124 offset1:160
	ds_load_2addr_b32 v[14:15], v4 offset0:27 offset1:54
	ds_load_2addr_b32 v[22:23], v18 offset0:59 offset1:86
	ds_load_2addr_b32 v[20:21], v4 offset0:198 offset1:225
	ds_load_2addr_b32 v[12:13], v4 offset0:81 offset1:108
	ds_load_2addr_b32 v[18:19], v18 offset0:113 offset1:140
	s_and_saveexec_b32 s1, s0
	s_cbranch_execz .LBB0_27
; %bb.26:
	ds_load_2addr_b32 v[8:9], v37 offset0:7 offset1:151
	ds_load_b32 v7, v4 offset:1692
	s_wait_dscnt 0x1
	v_lshrrev_b32_e32 v31, 16, v8
	v_lshrrev_b32_e32 v32, 16, v9
	s_wait_dscnt 0x0
	v_lshrrev_b32_e32 v30, 16, v7
.LBB0_27:
	s_wait_alu 0xfffe
	s_or_b32 exec_lo, exec_lo, s1
	global_load_b64 v[37:38], v[10:11], off offset:564
	v_dual_mov_b32 v11, 0 :: v_dual_lshlrev_b32 v10, 1, v36
	s_wait_dscnt 0x6
	v_lshrrev_b32_e32 v54, 16, v24
	s_wait_dscnt 0x5
	v_lshrrev_b32_e32 v56, 16, v17
	;; [unrolled: 2-line block ×3, first 2 shown]
	v_lshrrev_b32_e32 v53, 16, v25
	v_lshlrev_b64_e32 v[39:40], 2, v[10:11]
	v_lshl_add_u32 v10, v3, 1, 0x6c
	v_lshrrev_b32_e32 v50, 16, v23
	s_wait_dscnt 0x2
	v_lshrrev_b32_e32 v51, 16, v20
	s_wait_dscnt 0x0
	v_lshrrev_b32_e32 v46, 16, v18
	v_lshl_add_u32 v26, v26, 2, v29
	v_lshlrev_b64_e32 v[41:42], 2, v[10:11]
	v_lshlrev_b32_e32 v10, 1, v34
	v_add_co_u32 v39, s1, s8, v39
	s_wait_alu 0xf1ff
	v_add_co_ci_u32_e64 v40, s1, s9, v40, s1
	s_delay_alu instid0(VALU_DEP_3) | instskip(SKIP_4) | instid1(VALU_DEP_4)
	v_lshlrev_b64_e32 v[43:44], 2, v[10:11]
	v_add_co_u32 v41, s1, s8, v41
	v_lshlrev_b32_e32 v10, 1, v35
	s_wait_alu 0xf1ff
	v_add_co_ci_u32_e64 v42, s1, s9, v42, s1
	v_add_co_u32 v34, s1, s8, v43
	s_wait_alu 0xf1ff
	v_add_co_ci_u32_e64 v35, s1, s9, v44, s1
	v_lshlrev_b64_e32 v[43:44], 2, v[10:11]
	s_clause 0x1
	global_load_b64 v[39:40], v[39:40], off offset:564
	global_load_b64 v[41:42], v[41:42], off offset:564
	v_lshrrev_b32_e32 v10, 16, v27
	v_lshrrev_b32_e32 v29, 16, v21
	;; [unrolled: 1-line block ×3, first 2 shown]
	v_add_co_u32 v43, s1, s8, v43
	s_wait_alu 0xf1ff
	v_add_co_ci_u32_e64 v44, s1, s9, v44, s1
	v_lshrrev_b32_e32 v36, 16, v15
	v_lshrrev_b32_e32 v48, 16, v16
	;; [unrolled: 1-line block ×3, first 2 shown]
	s_clause 0x1
	global_load_b64 v[43:44], v[43:44], off offset:564
	global_load_b64 v[34:35], v[34:35], off offset:564
	v_lshrrev_b32_e32 v45, 16, v12
	global_wb scope:SCOPE_SE
	s_wait_loadcnt 0x0
	s_barrier_signal -1
	s_barrier_wait -1
	global_inv scope:SCOPE_SE
	v_lshrrev_b32_e32 v47, 16, v13
	v_add_nc_u32_e32 v58, 0x400, v26
	v_lshrrev_b32_e32 v55, 16, v37
	v_lshrrev_b32_e32 v57, 16, v38
	s_delay_alu instid0(VALU_DEP_2) | instskip(SKIP_1) | instid1(VALU_DEP_3)
	v_mul_f16_e32 v59, v55, v54
	v_mul_f16_e32 v55, v55, v24
	;; [unrolled: 1-line block ×4, first 2 shown]
	s_delay_alu instid0(VALU_DEP_4) | instskip(NEXT) | instid1(VALU_DEP_4)
	v_fma_f16 v24, v37, v24, -v59
	v_fmac_f16_e32 v55, v37, v54
	s_delay_alu instid0(VALU_DEP_4) | instskip(NEXT) | instid1(VALU_DEP_4)
	v_fma_f16 v17, v38, v17, -v60
	v_fmac_f16_e32 v57, v38, v56
	s_delay_alu instid0(VALU_DEP_4) | instskip(NEXT) | instid1(VALU_DEP_4)
	v_add_f16_e32 v37, v27, v24
	v_add_f16_e32 v56, v10, v55
	s_delay_alu instid0(VALU_DEP_4) | instskip(NEXT) | instid1(VALU_DEP_4)
	v_add_f16_e32 v38, v24, v17
	v_sub_f16_e32 v54, v55, v57
	v_add_f16_e32 v55, v55, v57
	v_sub_f16_e32 v24, v24, v17
	v_add_f16_e32 v17, v37, v17
	v_fmac_f16_e32 v27, -0.5, v38
	v_add_f16_e32 v37, v56, v57
	v_fmac_f16_e32 v10, -0.5, v55
	s_delay_alu instid0(VALU_DEP_3) | instskip(SKIP_1) | instid1(VALU_DEP_3)
	v_fmamk_f16 v61, v54, 0x3aee, v27
	v_fmac_f16_e32 v27, 0xbaee, v54
	v_fmamk_f16 v54, v24, 0xbaee, v10
	v_lshrrev_b32_e32 v59, 16, v39
	v_lshrrev_b32_e32 v60, 16, v40
	v_fmac_f16_e32 v10, 0x3aee, v24
	v_pack_b32_f16 v17, v17, v37
	s_delay_alu instid0(VALU_DEP_4)
	v_mul_f16_e32 v38, v59, v53
	v_mul_f16_e32 v55, v59, v25
	v_mul_f16_e32 v56, v60, v52
	v_mul_f16_e32 v57, v60, v22
	v_lshrrev_b32_e32 v59, 16, v41
	v_lshrrev_b32_e32 v60, 16, v42
	v_fma_f16 v24, v39, v25, -v38
	v_fmac_f16_e32 v55, v39, v53
	v_fma_f16 v22, v40, v22, -v56
	v_fmac_f16_e32 v57, v40, v52
	v_mul_f16_e32 v25, v59, v51
	v_mul_f16_e32 v37, v59, v20
	;; [unrolled: 1-line block ×4, first 2 shown]
	v_lshrrev_b32_e32 v40, 16, v34
	v_lshrrev_b32_e32 v52, 16, v35
	v_pack_b32_f16 v10, v27, v10
	v_fma_f16 v20, v41, v20, -v25
	v_fmac_f16_e32 v37, v41, v51
	v_fma_f16 v23, v42, v23, -v38
	v_fmac_f16_e32 v39, v42, v50
	v_mul_f16_e32 v25, v40, v29
	v_mul_f16_e32 v27, v40, v21
	;; [unrolled: 1-line block ×4, first 2 shown]
	v_lshrrev_b32_e32 v41, 16, v43
	v_lshrrev_b32_e32 v42, 16, v44
	v_pack_b32_f16 v53, v61, v54
	v_sub_f16_e32 v52, v55, v57
	v_add_f16_e32 v54, v28, v55
	v_add_f16_e32 v55, v55, v57
	;; [unrolled: 1-line block ×3, first 2 shown]
	ds_store_b32 v4, v10 offset:1152
	v_fma_f16 v10, v34, v21, -v25
	v_fmac_f16_e32 v27, v34, v29
	v_fma_f16 v18, v18, v35, -v38
	v_fmac_f16_e32 v40, v46, v35
	v_mul_f16_e32 v21, v48, v41
	v_mul_f16_e32 v25, v16, v41
	;; [unrolled: 1-line block ×4, first 2 shown]
	v_add_f16_e32 v38, v15, v20
	v_add_f16_e32 v41, v20, v23
	v_sub_f16_e32 v42, v37, v39
	v_add_f16_e32 v46, v36, v37
	v_add_f16_e32 v37, v37, v39
	;; [unrolled: 1-line block ×3, first 2 shown]
	v_sub_f16_e32 v24, v24, v22
	v_fmac_f16_e32 v28, -0.5, v55
	v_add_f16_e32 v22, v50, v22
	v_add_f16_e32 v35, v54, v57
	v_sub_f16_e32 v20, v20, v23
	v_fma_f16 v16, v16, v43, -v21
	v_fmac_f16_e32 v25, v48, v43
	v_fma_f16 v19, v19, v44, -v29
	v_fmac_f16_e32 v34, v49, v44
	v_add_f16_e32 v23, v38, v23
	v_fmac_f16_e32 v15, -0.5, v41
	v_fmac_f16_e32 v36, -0.5, v37
	v_add_f16_e32 v37, v12, v10
	v_add_f16_e32 v38, v10, v18
	;; [unrolled: 1-line block ×3, first 2 shown]
	v_fma_f16 v14, -0.5, v51, v14
	v_fmamk_f16 v29, v24, 0xbaee, v28
	v_fmac_f16_e32 v28, 0x3aee, v24
	v_add_f16_e32 v24, v46, v39
	v_sub_f16_e32 v39, v27, v40
	v_add_f16_e32 v27, v27, v40
	v_sub_f16_e32 v10, v10, v18
	v_pack_b32_f16 v22, v22, v35
	v_fmamk_f16 v35, v42, 0x3aee, v15
	v_fmac_f16_e32 v15, 0xbaee, v42
	v_fmamk_f16 v42, v20, 0xbaee, v36
	v_fmac_f16_e32 v36, 0x3aee, v20
	v_add_f16_e32 v18, v37, v18
	v_fma_f16 v12, -0.5, v38, v12
	v_add_f16_e32 v20, v41, v40
	v_add_f16_e32 v37, v16, v19
	v_sub_f16_e32 v38, v25, v34
	v_add_f16_e32 v40, v47, v25
	v_add_f16_e32 v25, v25, v34
	v_fmamk_f16 v21, v52, 0x3aee, v14
	v_fmac_f16_e32 v45, -0.5, v27
	v_add_f16_e32 v27, v13, v16
	v_sub_f16_e32 v16, v16, v19
	v_fmac_f16_e32 v13, -0.5, v37
	v_fmac_f16_e32 v47, -0.5, v25
	v_fmac_f16_e32 v14, 0xbaee, v52
	ds_store_2addr_b32 v4, v17, v22 offset1:27
	v_pack_b32_f16 v17, v21, v29
	v_pack_b32_f16 v21, v23, v24
	v_fmamk_f16 v23, v10, 0xbaee, v45
	v_fmac_f16_e32 v45, 0x3aee, v10
	v_add_f16_e32 v10, v27, v19
	v_add_f16_e32 v19, v40, v34
	v_fmamk_f16 v22, v39, 0x3aee, v12
	v_pack_b32_f16 v24, v35, v42
	v_pack_b32_f16 v18, v18, v20
	v_fmamk_f16 v20, v38, 0x3aee, v13
	v_fmamk_f16 v25, v16, 0xbaee, v47
	v_fmac_f16_e32 v12, 0xbaee, v39
	v_fmac_f16_e32 v13, 0xbaee, v38
	;; [unrolled: 1-line block ×3, first 2 shown]
	v_pack_b32_f16 v14, v14, v28
	v_pack_b32_f16 v15, v15, v36
	;; [unrolled: 1-line block ×3, first 2 shown]
	ds_store_2addr_b32 v26, v17, v24 offset0:171 offset1:198
	v_pack_b32_f16 v16, v22, v23
	v_pack_b32_f16 v17, v20, v25
	;; [unrolled: 1-line block ×4, first 2 shown]
	ds_store_2addr_b32 v58, v14, v15 offset0:59 offset1:86
	ds_store_2addr_b32 v4, v21, v18 offset0:54 offset1:81
	;; [unrolled: 1-line block ×5, first 2 shown]
	s_and_saveexec_b32 s1, s0
	s_cbranch_execz .LBB0_29
; %bb.28:
	v_add_nc_u32_e32 v10, -9, v3
	s_delay_alu instid0(VALU_DEP_1) | instskip(NEXT) | instid1(VALU_DEP_1)
	v_cndmask_b32_e64 v10, v10, v33, s0
	v_lshlrev_b32_e32 v10, 1, v10
	s_delay_alu instid0(VALU_DEP_1) | instskip(NEXT) | instid1(VALU_DEP_1)
	v_lshlrev_b64_e32 v[10:11], 2, v[10:11]
	v_add_co_u32 v10, s0, s8, v10
	s_wait_alu 0xf1ff
	s_delay_alu instid0(VALU_DEP_2) | instskip(SKIP_4) | instid1(VALU_DEP_2)
	v_add_co_ci_u32_e64 v11, s0, s9, v11, s0
	global_load_b64 v[10:11], v[10:11], off offset:564
	s_wait_loadcnt 0x0
	v_lshrrev_b32_e32 v12, 16, v11
	v_lshrrev_b32_e32 v13, 16, v10
	v_mul_f16_e32 v14, v7, v12
	s_delay_alu instid0(VALU_DEP_2) | instskip(SKIP_2) | instid1(VALU_DEP_4)
	v_mul_f16_e32 v15, v9, v13
	v_mul_f16_e32 v13, v32, v13
	;; [unrolled: 1-line block ×3, first 2 shown]
	v_fmac_f16_e32 v14, v30, v11
	s_delay_alu instid0(VALU_DEP_4) | instskip(NEXT) | instid1(VALU_DEP_4)
	v_fmac_f16_e32 v15, v32, v10
	v_fma_f16 v9, v9, v10, -v13
	s_delay_alu instid0(VALU_DEP_4) | instskip(NEXT) | instid1(VALU_DEP_3)
	v_fma_f16 v7, v7, v11, -v12
	v_add_f16_e32 v10, v15, v14
	v_add_f16_e32 v11, v31, v15
	s_delay_alu instid0(VALU_DEP_3)
	v_add_f16_e32 v12, v9, v7
	v_add_f16_e32 v13, v8, v9
	v_sub_f16_e32 v9, v9, v7
	v_fmac_f16_e32 v31, -0.5, v10
	v_sub_f16_e32 v10, v15, v14
	v_fmac_f16_e32 v8, -0.5, v12
	v_add_f16_e32 v11, v11, v14
	v_add_f16_e32 v7, v13, v7
	v_fmamk_f16 v12, v9, 0x3aee, v31
	v_fmac_f16_e32 v31, 0xbaee, v9
	v_fmamk_f16 v9, v10, 0xbaee, v8
	v_fmac_f16_e32 v8, 0x3aee, v10
	v_add_nc_u32_e32 v10, 0x200, v4
	v_pack_b32_f16 v7, v7, v11
	s_delay_alu instid0(VALU_DEP_4) | instskip(NEXT) | instid1(VALU_DEP_4)
	v_pack_b32_f16 v9, v9, v12
	v_pack_b32_f16 v8, v8, v31
	ds_store_2addr_b32 v10, v7, v8 offset0:7 offset1:151
	ds_store_b32 v4, v9 offset:1692
.LBB0_29:
	s_wait_alu 0xfffe
	s_or_b32 exec_lo, exec_lo, s1
	global_wb scope:SCOPE_SE
	s_wait_dscnt 0x0
	s_barrier_signal -1
	s_barrier_wait -1
	global_inv scope:SCOPE_SE
	s_and_saveexec_b32 s0, vcc_lo
	s_cbranch_execz .LBB0_31
; %bb.30:
	v_mul_lo_u32 v7, s3, v5
	v_mul_lo_u32 v8, s2, v6
	v_mad_co_u64_u32 v[5:6], null, s2, v5, 0
	v_mov_b32_e32 v4, 0
	v_lshl_add_u32 v31, v3, 2, v0
	v_lshlrev_b64_e32 v[0:1], 2, v[1:2]
	v_add_nc_u32_e32 v17, 0x87, v3
	v_add_nc_u32_e32 v21, 0xa2, v3
	;; [unrolled: 1-line block ×3, first 2 shown]
	v_add3_u32 v6, v6, v8, v7
	v_add_nc_u32_e32 v7, 27, v3
	v_lshlrev_b64_e32 v[13:14], 2, v[3:4]
	v_dual_mov_b32 v8, v4 :: v_dual_add_nc_u32 v9, 54, v3
	s_delay_alu instid0(VALU_DEP_4)
	v_lshlrev_b64_e32 v[5:6], 2, v[5:6]
	v_mov_b32_e32 v10, v4
	v_mov_b32_e32 v16, v4
	ds_load_2addr_b32 v[11:12], v31 offset1:27
	v_mov_b32_e32 v18, v4
	ds_load_2addr_b32 v[19:20], v31 offset0:108 offset1:135
	v_add_co_u32 v2, vcc_lo, s6, v5
	s_wait_alu 0xfffd
	v_add_co_ci_u32_e32 v15, vcc_lo, s7, v6, vcc_lo
	v_lshlrev_b64_e32 v[5:6], 2, v[7:8]
	s_delay_alu instid0(VALU_DEP_3) | instskip(SKIP_1) | instid1(VALU_DEP_3)
	v_add_co_u32 v32, vcc_lo, v2, v0
	s_wait_alu 0xfffd
	v_add_co_ci_u32_e32 v33, vcc_lo, v15, v1, vcc_lo
	v_mov_b32_e32 v22, v4
	s_delay_alu instid0(VALU_DEP_3) | instskip(SKIP_1) | instid1(VALU_DEP_3)
	v_add_co_u32 v7, vcc_lo, v32, v13
	s_wait_alu 0xfffd
	v_add_co_ci_u32_e32 v8, vcc_lo, v33, v14, vcc_lo
	v_dual_mov_b32 v14, v4 :: v_dual_add_nc_u32 v13, 0x51, v3
	v_add_nc_u32_e32 v15, 0x6c, v3
	v_lshlrev_b64_e32 v[0:1], 2, v[9:10]
	v_add_co_u32 v5, vcc_lo, v32, v5
	s_delay_alu instid0(VALU_DEP_4)
	v_lshlrev_b64_e32 v[13:14], 2, v[13:14]
	s_wait_alu 0xfffd
	v_add_co_ci_u32_e32 v6, vcc_lo, v33, v6, vcc_lo
	ds_load_2addr_b32 v[9:10], v31 offset0:54 offset1:81
	v_add_co_u32 v0, vcc_lo, v32, v0
	v_lshlrev_b64_e32 v[15:16], 2, v[15:16]
	s_wait_alu 0xfffd
	v_add_co_ci_u32_e32 v1, vcc_lo, v33, v1, vcc_lo
	v_add_co_u32 v13, vcc_lo, v32, v13
	v_lshlrev_b64_e32 v[17:18], 2, v[17:18]
	ds_load_2addr_b32 v[25:26], v31 offset0:162 offset1:189
	v_dual_mov_b32 v24, v4 :: v_dual_add_nc_u32 v27, 0xd8, v3
	s_wait_alu 0xfffd
	v_add_co_ci_u32_e32 v14, vcc_lo, v33, v14, vcc_lo
	v_add_co_u32 v15, vcc_lo, v32, v15
	v_lshlrev_b64_e32 v[21:22], 2, v[21:22]
	s_wait_alu 0xfffd
	v_add_co_ci_u32_e32 v16, vcc_lo, v33, v16, vcc_lo
	v_add_co_u32 v17, vcc_lo, v32, v17
	v_lshlrev_b64_e32 v[23:24], 2, v[23:24]
	s_wait_alu 0xfffd
	v_add_co_ci_u32_e32 v18, vcc_lo, v33, v18, vcc_lo
	v_add_co_u32 v21, vcc_lo, v32, v21
	v_dual_mov_b32 v28, v4 :: v_dual_add_nc_u32 v29, 0xf3, v3
	s_wait_alu 0xfffd
	v_add_co_ci_u32_e32 v22, vcc_lo, v33, v22, vcc_lo
	v_add_co_u32 v23, vcc_lo, v32, v23
	v_mov_b32_e32 v30, v4
	s_wait_alu 0xfffd
	v_add_co_ci_u32_e32 v24, vcc_lo, v33, v24, vcc_lo
	s_wait_dscnt 0x3
	s_clause 0x1
	global_store_b32 v[7:8], v11, off
	global_store_b32 v[5:6], v12, off
	s_wait_dscnt 0x1
	s_clause 0x3
	global_store_b32 v[0:1], v9, off
	global_store_b32 v[13:14], v10, off
	;; [unrolled: 1-line block ×4, first 2 shown]
	s_wait_dscnt 0x0
	s_clause 0x1
	global_store_b32 v[21:22], v25, off
	global_store_b32 v[23:24], v26, off
	v_add_nc_u32_e32 v9, 0x10e, v3
	v_lshlrev_b64_e32 v[0:1], 2, v[27:28]
	v_dual_mov_b32 v10, v4 :: v_dual_add_nc_u32 v13, 0x129, v3
	v_lshlrev_b64_e32 v[7:8], 2, v[29:30]
	v_dual_mov_b32 v14, v4 :: v_dual_add_nc_u32 v15, 0x144, v3
	s_delay_alu instid0(VALU_DEP_4)
	v_add_co_u32 v0, vcc_lo, v32, v0
	v_add_nc_u32_e32 v2, 0x400, v31
	v_lshlrev_b64_e32 v[9:10], 2, v[9:10]
	v_dual_mov_b32 v16, v4 :: v_dual_add_nc_u32 v17, 0x15f, v3
	s_wait_alu 0xfffd
	v_add_co_ci_u32_e32 v1, vcc_lo, v33, v1, vcc_lo
	ds_load_2addr_b32 v[5:6], v31 offset0:216 offset1:243
	v_add_co_u32 v7, vcc_lo, v32, v7
	v_lshlrev_b64_e32 v[13:14], 2, v[13:14]
	v_dual_mov_b32 v18, v4 :: v_dual_add_nc_u32 v21, 0x17a, v3
	s_wait_alu 0xfffd
	v_add_co_ci_u32_e32 v8, vcc_lo, v33, v8, vcc_lo
	ds_load_2addr_b32 v[11:12], v2 offset0:14 offset1:41
	v_add_co_u32 v9, vcc_lo, v32, v9
	v_lshlrev_b64_e32 v[15:16], 2, v[15:16]
	ds_load_2addr_b32 v[19:20], v2 offset0:68 offset1:95
	v_dual_mov_b32 v22, v4 :: v_dual_add_nc_u32 v3, 0x195, v3
	s_wait_alu 0xfffd
	v_add_co_ci_u32_e32 v10, vcc_lo, v33, v10, vcc_lo
	v_add_co_u32 v13, vcc_lo, v32, v13
	v_lshlrev_b64_e32 v[17:18], 2, v[17:18]
	ds_load_2addr_b32 v[23:24], v2 offset0:122 offset1:149
	s_wait_alu 0xfffd
	v_add_co_ci_u32_e32 v14, vcc_lo, v33, v14, vcc_lo
	v_add_co_u32 v15, vcc_lo, v32, v15
	v_lshlrev_b64_e32 v[21:22], 2, v[21:22]
	s_wait_alu 0xfffd
	v_add_co_ci_u32_e32 v16, vcc_lo, v33, v16, vcc_lo
	v_add_co_u32 v17, vcc_lo, v32, v17
	v_lshlrev_b64_e32 v[2:3], 2, v[3:4]
	s_wait_alu 0xfffd
	v_add_co_ci_u32_e32 v18, vcc_lo, v33, v18, vcc_lo
	v_add_co_u32 v21, vcc_lo, v32, v21
	s_wait_alu 0xfffd
	v_add_co_ci_u32_e32 v22, vcc_lo, v33, v22, vcc_lo
	v_add_co_u32 v2, vcc_lo, v32, v2
	s_wait_alu 0xfffd
	v_add_co_ci_u32_e32 v3, vcc_lo, v33, v3, vcc_lo
	s_wait_dscnt 0x3
	s_clause 0x1
	global_store_b32 v[0:1], v5, off
	global_store_b32 v[7:8], v6, off
	s_wait_dscnt 0x2
	s_clause 0x1
	global_store_b32 v[9:10], v11, off
	global_store_b32 v[13:14], v12, off
	;; [unrolled: 4-line block ×4, first 2 shown]
.LBB0_31:
	s_nop 0
	s_sendmsg sendmsg(MSG_DEALLOC_VGPRS)
	s_endpgm
	.section	.rodata,"a",@progbits
	.p2align	6, 0x0
	.amdhsa_kernel fft_rtc_fwd_len432_factors_3_16_3_3_wgs_54_tpt_27_halfLds_half_op_CI_CI_unitstride_sbrr_C2R_dirReg
		.amdhsa_group_segment_fixed_size 0
		.amdhsa_private_segment_fixed_size 0
		.amdhsa_kernarg_size 104
		.amdhsa_user_sgpr_count 2
		.amdhsa_user_sgpr_dispatch_ptr 0
		.amdhsa_user_sgpr_queue_ptr 0
		.amdhsa_user_sgpr_kernarg_segment_ptr 1
		.amdhsa_user_sgpr_dispatch_id 0
		.amdhsa_user_sgpr_private_segment_size 0
		.amdhsa_wavefront_size32 1
		.amdhsa_uses_dynamic_stack 0
		.amdhsa_enable_private_segment 0
		.amdhsa_system_sgpr_workgroup_id_x 1
		.amdhsa_system_sgpr_workgroup_id_y 0
		.amdhsa_system_sgpr_workgroup_id_z 0
		.amdhsa_system_sgpr_workgroup_info 0
		.amdhsa_system_vgpr_workitem_id 0
		.amdhsa_next_free_vgpr 94
		.amdhsa_next_free_sgpr 39
		.amdhsa_reserve_vcc 1
		.amdhsa_float_round_mode_32 0
		.amdhsa_float_round_mode_16_64 0
		.amdhsa_float_denorm_mode_32 3
		.amdhsa_float_denorm_mode_16_64 3
		.amdhsa_fp16_overflow 0
		.amdhsa_workgroup_processor_mode 1
		.amdhsa_memory_ordered 1
		.amdhsa_forward_progress 0
		.amdhsa_round_robin_scheduling 0
		.amdhsa_exception_fp_ieee_invalid_op 0
		.amdhsa_exception_fp_denorm_src 0
		.amdhsa_exception_fp_ieee_div_zero 0
		.amdhsa_exception_fp_ieee_overflow 0
		.amdhsa_exception_fp_ieee_underflow 0
		.amdhsa_exception_fp_ieee_inexact 0
		.amdhsa_exception_int_div_zero 0
	.end_amdhsa_kernel
	.text
.Lfunc_end0:
	.size	fft_rtc_fwd_len432_factors_3_16_3_3_wgs_54_tpt_27_halfLds_half_op_CI_CI_unitstride_sbrr_C2R_dirReg, .Lfunc_end0-fft_rtc_fwd_len432_factors_3_16_3_3_wgs_54_tpt_27_halfLds_half_op_CI_CI_unitstride_sbrr_C2R_dirReg
                                        ; -- End function
	.section	.AMDGPU.csdata,"",@progbits
; Kernel info:
; codeLenInByte = 10656
; NumSgprs: 41
; NumVgprs: 94
; ScratchSize: 0
; MemoryBound: 0
; FloatMode: 240
; IeeeMode: 1
; LDSByteSize: 0 bytes/workgroup (compile time only)
; SGPRBlocks: 5
; VGPRBlocks: 11
; NumSGPRsForWavesPerEU: 41
; NumVGPRsForWavesPerEU: 94
; Occupancy: 16
; WaveLimiterHint : 1
; COMPUTE_PGM_RSRC2:SCRATCH_EN: 0
; COMPUTE_PGM_RSRC2:USER_SGPR: 2
; COMPUTE_PGM_RSRC2:TRAP_HANDLER: 0
; COMPUTE_PGM_RSRC2:TGID_X_EN: 1
; COMPUTE_PGM_RSRC2:TGID_Y_EN: 0
; COMPUTE_PGM_RSRC2:TGID_Z_EN: 0
; COMPUTE_PGM_RSRC2:TIDIG_COMP_CNT: 0
	.text
	.p2alignl 7, 3214868480
	.fill 96, 4, 3214868480
	.type	__hip_cuid_b53fefd930c7841e,@object ; @__hip_cuid_b53fefd930c7841e
	.section	.bss,"aw",@nobits
	.globl	__hip_cuid_b53fefd930c7841e
__hip_cuid_b53fefd930c7841e:
	.byte	0                               ; 0x0
	.size	__hip_cuid_b53fefd930c7841e, 1

	.ident	"AMD clang version 19.0.0git (https://github.com/RadeonOpenCompute/llvm-project roc-6.4.0 25133 c7fe45cf4b819c5991fe208aaa96edf142730f1d)"
	.section	".note.GNU-stack","",@progbits
	.addrsig
	.addrsig_sym __hip_cuid_b53fefd930c7841e
	.amdgpu_metadata
---
amdhsa.kernels:
  - .args:
      - .actual_access:  read_only
        .address_space:  global
        .offset:         0
        .size:           8
        .value_kind:     global_buffer
      - .offset:         8
        .size:           8
        .value_kind:     by_value
      - .actual_access:  read_only
        .address_space:  global
        .offset:         16
        .size:           8
        .value_kind:     global_buffer
      - .actual_access:  read_only
        .address_space:  global
        .offset:         24
        .size:           8
        .value_kind:     global_buffer
      - .actual_access:  read_only
        .address_space:  global
        .offset:         32
        .size:           8
        .value_kind:     global_buffer
      - .offset:         40
        .size:           8
        .value_kind:     by_value
      - .actual_access:  read_only
        .address_space:  global
        .offset:         48
        .size:           8
        .value_kind:     global_buffer
      - .actual_access:  read_only
        .address_space:  global
        .offset:         56
        .size:           8
        .value_kind:     global_buffer
      - .offset:         64
        .size:           4
        .value_kind:     by_value
      - .actual_access:  read_only
        .address_space:  global
        .offset:         72
        .size:           8
        .value_kind:     global_buffer
      - .actual_access:  read_only
        .address_space:  global
        .offset:         80
        .size:           8
        .value_kind:     global_buffer
      - .actual_access:  read_only
        .address_space:  global
        .offset:         88
        .size:           8
        .value_kind:     global_buffer
      - .actual_access:  write_only
        .address_space:  global
        .offset:         96
        .size:           8
        .value_kind:     global_buffer
    .group_segment_fixed_size: 0
    .kernarg_segment_align: 8
    .kernarg_segment_size: 104
    .language:       OpenCL C
    .language_version:
      - 2
      - 0
    .max_flat_workgroup_size: 54
    .name:           fft_rtc_fwd_len432_factors_3_16_3_3_wgs_54_tpt_27_halfLds_half_op_CI_CI_unitstride_sbrr_C2R_dirReg
    .private_segment_fixed_size: 0
    .sgpr_count:     41
    .sgpr_spill_count: 0
    .symbol:         fft_rtc_fwd_len432_factors_3_16_3_3_wgs_54_tpt_27_halfLds_half_op_CI_CI_unitstride_sbrr_C2R_dirReg.kd
    .uniform_work_group_size: 1
    .uses_dynamic_stack: false
    .vgpr_count:     94
    .vgpr_spill_count: 0
    .wavefront_size: 32
    .workgroup_processor_mode: 1
amdhsa.target:   amdgcn-amd-amdhsa--gfx1201
amdhsa.version:
  - 1
  - 2
...

	.end_amdgpu_metadata
